;; amdgpu-corpus repo=ROCm/rocFFT kind=compiled arch=gfx1030 opt=O3
	.text
	.amdgcn_target "amdgcn-amd-amdhsa--gfx1030"
	.amdhsa_code_object_version 6
	.protected	bluestein_single_back_len200_dim1_sp_op_CI_CI ; -- Begin function bluestein_single_back_len200_dim1_sp_op_CI_CI
	.globl	bluestein_single_back_len200_dim1_sp_op_CI_CI
	.p2align	8
	.type	bluestein_single_back_len200_dim1_sp_op_CI_CI,@function
bluestein_single_back_len200_dim1_sp_op_CI_CI: ; @bluestein_single_back_len200_dim1_sp_op_CI_CI
; %bb.0:
	s_load_dwordx4 s[16:19], s[4:5], 0x28
	v_mul_u32_u24_e32 v1, 0xccd, v0
	s_mov_b32 s0, exec_lo
	v_lshrrev_b32_e32 v1, 16, v1
	v_mad_u64_u32 v[52:53], null, s6, 3, v[1:2]
	v_mov_b32_e32 v53, 0
	s_waitcnt lgkmcnt(0)
	v_cmpx_gt_u64_e64 s[16:17], v[52:53]
	s_cbranch_execz .LBB0_2
; %bb.1:
	s_clause 0x1
	s_load_dwordx4 s[0:3], s[4:5], 0x18
	s_load_dwordx4 s[8:11], s[4:5], 0x0
	v_mul_lo_u16 v1, v1, 20
	v_sub_nc_u16 v17, v0, v1
	v_and_b32_e32 v88, 0xffff, v17
	v_or_b32_e32 v87, 0xa0, v88
	v_lshlrev_b32_e32 v16, 3, v88
	s_waitcnt lgkmcnt(0)
	s_load_dwordx4 s[12:15], s[0:1], 0x0
	s_add_u32 s6, s8, 0x640
	s_addc_u32 s7, s9, 0
	s_clause 0x1
	global_load_dwordx2 v[32:33], v16, s[8:9]
	global_load_dwordx2 v[34:35], v16, s[8:9] offset:1280
	s_waitcnt lgkmcnt(0)
	v_mad_u64_u32 v[0:1], null, s14, v52, 0
	v_mad_u64_u32 v[2:3], null, s12, v88, 0
	s_mul_i32 s0, s13, 0xa0
	s_mul_hi_u32 s1, s12, 0xa0
	s_mul_i32 s14, s12, 0xa0
	s_add_i32 s1, s1, s0
	v_mad_u64_u32 v[4:5], null, s15, v52, v[1:2]
	v_mad_u64_u32 v[5:6], null, s13, v88, v[3:4]
	v_mov_b32_e32 v1, v4
	v_mad_u64_u32 v[6:7], null, s12, v87, 0
	v_lshlrev_b64 v[0:1], 3, v[0:1]
	v_mov_b32_e32 v3, v5
	v_add_co_u32 v14, vcc_lo, s18, v0
	v_lshlrev_b64 v[2:3], 3, v[2:3]
	v_add_co_ci_u32_e32 v15, vcc_lo, s19, v1, vcc_lo
	v_mov_b32_e32 v0, v7
	v_add_co_u32 v1, vcc_lo, v14, v2
	v_add_co_ci_u32_e32 v2, vcc_lo, v15, v3, vcc_lo
	v_mad_u64_u32 v[3:4], null, s13, v87, v[0:1]
	v_add_co_u32 v4, vcc_lo, v1, s14
	v_add_co_ci_u32_e32 v5, vcc_lo, s1, v2, vcc_lo
	global_load_dwordx2 v[0:1], v[1:2], off
	v_add_co_u32 v8, vcc_lo, v4, s14
	v_add_co_ci_u32_e32 v9, vcc_lo, s1, v5, vcc_lo
	v_mov_b32_e32 v7, v3
	v_add_co_u32 v10, vcc_lo, v8, s14
	v_add_co_ci_u32_e32 v11, vcc_lo, s1, v9, vcc_lo
	v_lshlrev_b64 v[6:7], 3, v[6:7]
	v_add_co_u32 v12, vcc_lo, v10, s14
	v_add_co_ci_u32_e32 v13, vcc_lo, s1, v11, vcc_lo
	v_add_co_u32 v6, vcc_lo, v14, v6
	v_add_co_ci_u32_e32 v7, vcc_lo, v15, v7, vcc_lo
	;; [unrolled: 2-line block ×3, first 2 shown]
	global_load_dwordx2 v[6:7], v[6:7], off
	v_add_co_u32 v2, vcc_lo, v14, s14
	v_add_co_ci_u32_e32 v3, vcc_lo, s1, v15, vcc_lo
	global_load_dwordx2 v[36:37], v16, s[8:9] offset:160
	global_load_dwordx2 v[4:5], v[4:5], off
	v_add_co_u32 v18, vcc_lo, v2, s14
	v_add_co_ci_u32_e32 v19, vcc_lo, s1, v3, vcc_lo
	global_load_dwordx2 v[8:9], v[8:9], off
	s_clause 0x1
	global_load_dwordx2 v[40:41], v16, s[8:9] offset:320
	global_load_dwordx2 v[38:39], v16, s[8:9] offset:480
	s_clause 0x1
	global_load_dwordx2 v[10:11], v[10:11], off
	global_load_dwordx2 v[12:13], v[12:13], off
	global_load_dwordx2 v[42:43], v16, s[8:9] offset:640
	v_cmp_gt_u16_e32 vcc_lo, 10, v17
	v_mad_u64_u32 v[20:21], null, 0x140, s12, v[18:19]
	v_mad_u64_u32 v[21:22], null, 0x140, s13, v[21:22]
	global_load_dwordx2 v[14:15], v[14:15], off
	global_load_dwordx2 v[46:47], v16, s[8:9] offset:800
	global_load_dwordx2 v[2:3], v[2:3], off
	s_clause 0x1
	global_load_dwordx2 v[48:49], v16, s[8:9] offset:960
	global_load_dwordx2 v[50:51], v16, s[8:9] offset:1120
	global_load_dwordx2 v[22:23], v[18:19], off
	global_load_dwordx2 v[44:45], v16, s[8:9] offset:1440
	global_load_dwordx2 v[19:20], v[20:21], off
	v_mul_hi_u32 v18, 0xaaaaaaab, v52
	v_add_nc_u32_e32 v21, -10, v88
	s_load_dwordx4 s[0:3], s[2:3], 0x0
	v_cndmask_b32_e32 v31, v21, v88, vcc_lo
	v_lshrrev_b32_e32 v18, 1, v18
	v_mul_hi_i32_i24_e32 v21, 0x48, v31
	v_lshl_add_u32 v18, v18, 1, v18
	v_sub_nc_u32_e32 v18, v52, v18
	v_mul_u32_u24_e32 v18, 0xc8, v18
	v_lshlrev_b32_e32 v18, 3, v18
	v_add_nc_u32_e32 v89, v16, v18
	s_waitcnt vmcnt(17)
	v_mul_f32_e32 v24, v1, v33
	v_mul_f32_e32 v25, v0, v33
	v_fmac_f32_e32 v24, v0, v32
	v_fma_f32 v25, v1, v32, -v25
	s_waitcnt vmcnt(16)
	v_mul_f32_e32 v26, v7, v35
	v_mul_f32_e32 v27, v6, v35
	s_waitcnt vmcnt(14)
	v_mul_f32_e32 v0, v5, v37
	v_fmac_f32_e32 v26, v6, v34
	v_mul_f32_e32 v1, v4, v37
	s_waitcnt vmcnt(10)
	v_mul_f32_e32 v6, v11, v39
	v_fma_f32 v27, v7, v34, -v27
	v_fmac_f32_e32 v0, v4, v36
	v_mul_f32_e32 v4, v9, v41
	v_mul_f32_e32 v7, v8, v41
	;; [unrolled: 1-line block ×3, first 2 shown]
	v_fmac_f32_e32 v6, v10, v38
	v_fma_f32 v1, v5, v36, -v1
	v_fmac_f32_e32 v4, v8, v40
	s_waitcnt vmcnt(6)
	v_mul_f32_e32 v10, v15, v47
	v_fma_f32 v5, v9, v40, -v7
	v_mul_f32_e32 v8, v13, v43
	v_fma_f32 v7, v11, v38, -v28
	v_mul_f32_e32 v9, v12, v43
	v_mul_f32_e32 v11, v14, v47
	v_fmac_f32_e32 v10, v14, v46
	s_waitcnt vmcnt(0)
	v_mul_f32_e32 v14, v20, v45
	v_fmac_f32_e32 v8, v12, v42
	v_mul_f32_e32 v12, v3, v49
	v_fma_f32 v9, v13, v42, -v9
	v_fma_f32 v11, v15, v46, -v11
	v_mul_f32_e32 v13, v2, v49
	v_mul_f32_e32 v15, v22, v51
	;; [unrolled: 1-line block ×3, first 2 shown]
	v_fmac_f32_e32 v14, v19, v44
	v_mul_lo_u16 v19, v17, 10
	v_fmac_f32_e32 v12, v2, v48
	v_mul_f32_e32 v2, v23, v51
	v_fma_f32 v13, v3, v48, -v13
	v_fma_f32 v3, v23, v50, -v15
	v_fma_f32 v15, v20, v44, -v28
	v_mul_i32_i24_e32 v20, 0x48, v31
	v_and_b32_e32 v19, 0xffff, v19
	v_fmac_f32_e32 v2, v22, v50
	ds_write2_b64 v89, v[24:25], v[0:1] offset1:20
	ds_write2_b64 v89, v[4:5], v[6:7] offset0:40 offset1:60
	ds_write2_b64 v89, v[8:9], v[10:11] offset0:80 offset1:100
	;; [unrolled: 1-line block ×4, first 2 shown]
	v_add_co_u32 v23, vcc_lo, s10, v20
	s_waitcnt lgkmcnt(0)
	s_barrier
	buffer_gl0_inv
	ds_read2_b64 v[0:3], v89 offset1:20
	ds_read2_b64 v[4:7], v89 offset0:40 offset1:60
	ds_read2_b64 v[8:11], v89 offset0:80 offset1:100
	;; [unrolled: 1-line block ×3, first 2 shown]
	v_add_co_ci_u32_e32 v24, vcc_lo, s11, v21, vcc_lo
	v_lshl_add_u32 v90, v19, 3, v18
	ds_read2_b64 v[19:22], v89 offset0:160 offset1:180
	s_waitcnt lgkmcnt(0)
	s_barrier
	buffer_gl0_inv
	v_cmp_lt_u16_e32 vcc_lo, 9, v17
	v_cndmask_b32_e64 v17, 0, 0x64, vcc_lo
	v_add_f32_e32 v30, v1, v5
	v_add_f32_e32 v61, v3, v7
	;; [unrolled: 1-line block ×5, first 2 shown]
	v_sub_f32_e32 v65, v7, v11
	v_add_f32_e32 v70, v6, v21
	v_sub_f32_e32 v66, v11, v7
	v_sub_f32_e32 v69, v7, v22
	v_add_f32_e32 v7, v7, v22
	v_sub_f32_e32 v27, v9, v13
	v_add_f32_e32 v53, v9, v13
	v_sub_f32_e32 v55, v5, v9
	v_sub_f32_e32 v56, v9, v5
	;; [unrolled: 1-line block ×4, first 2 shown]
	v_add_f32_e32 v5, v5, v20
	v_add_f32_e32 v9, v30, v9
	;; [unrolled: 1-line block ×3, first 2 shown]
	v_fma_f32 v61, -0.5, v70, v2
	v_fma_f32 v2, -0.5, v58, v2
	v_add_f32_e32 v25, v0, v4
	v_add_f32_e32 v26, v8, v12
	v_sub_f32_e32 v60, v6, v10
	v_sub_f32_e32 v62, v10, v6
	;; [unrolled: 1-line block ×3, first 2 shown]
	v_add_f32_e32 v10, v57, v10
	v_fma_f32 v30, -0.5, v63, v3
	v_fmac_f32_e32 v3, -0.5, v7
	v_sub_f32_e32 v6, v6, v21
	v_sub_f32_e32 v28, v4, v8
	;; [unrolled: 1-line block ×8, first 2 shown]
	v_fma_f32 v53, -0.5, v53, v1
	v_fma_f32 v63, -0.5, v5, v1
	v_add_f32_e32 v1, v9, v13
	v_fmamk_f32 v13, v69, 0x3f737871, v2
	v_sub_f32_e32 v54, v8, v12
	v_add_f32_e32 v68, v4, v19
	v_sub_f32_e32 v76, v14, v21
	v_sub_f32_e32 v78, v15, v22
	v_add_f32_e32 v8, v25, v8
	v_fma_f32 v26, -0.5, v26, v0
	v_add_f32_e32 v7, v10, v14
	v_fmamk_f32 v9, v59, 0xbf737871, v61
	v_fmac_f32_e32 v61, 0x3f737871, v59
	v_fmamk_f32 v10, v64, 0x3f737871, v3
	v_fmac_f32_e32 v3, 0xbf737871, v64
	v_sub_f32_e32 v77, v22, v15
	v_fmac_f32_e32 v2, 0xbf737871, v69
	v_fmamk_f32 v14, v6, 0xbf737871, v30
	v_fmac_f32_e32 v30, 0x3f737871, v6
	v_sub_f32_e32 v4, v4, v19
	v_add_f32_e32 v5, v28, v71
	v_add_f32_e32 v28, v29, v72
	;; [unrolled: 1-line block ×3, first 2 shown]
	v_fmac_f32_e32 v13, 0x3f167918, v59
	v_add_f32_e32 v25, v62, v76
	v_add_f32_e32 v57, v66, v78
	v_fma_f32 v62, -0.5, v68, v0
	v_add_f32_e32 v0, v8, v12
	v_add_f32_e32 v8, v11, v15
	v_fmamk_f32 v11, v67, 0x3f737871, v26
	v_fmac_f32_e32 v26, 0xbf737871, v67
	v_fmac_f32_e32 v61, 0xbf167918, v69
	;; [unrolled: 1-line block ×5, first 2 shown]
	v_add_f32_e32 v58, v65, v77
	v_fmac_f32_e32 v2, 0xbf167918, v59
	v_fmac_f32_e32 v30, 0x3f167918, v64
	v_fmamk_f32 v60, v4, 0xbf737871, v53
	v_fmamk_f32 v65, v54, 0x3f737871, v63
	v_fmac_f32_e32 v63, 0xbf737871, v54
	v_fmac_f32_e32 v14, 0xbf167918, v64
	;; [unrolled: 1-line block ×3, first 2 shown]
	v_fmamk_f32 v12, v27, 0xbf737871, v62
	v_fmac_f32_e32 v62, 0x3f737871, v27
	v_add_f32_e32 v15, v0, v19
	v_add_f32_e32 v7, v7, v21
	v_fmac_f32_e32 v11, 0x3f167918, v27
	v_fmac_f32_e32 v26, 0xbf167918, v27
	;; [unrolled: 1-line block ×9, first 2 shown]
	v_add_f32_e32 v55, v55, v73
	v_add_f32_e32 v8, v8, v22
	v_fmac_f32_e32 v60, 0xbf167918, v54
	v_fmac_f32_e32 v65, 0xbf167918, v4
	;; [unrolled: 1-line block ×4, first 2 shown]
	v_mul_f32_e32 v4, 0x3f4f1bbd, v13
	v_mul_f32_e32 v22, 0xbf167918, v13
	v_add_f32_e32 v56, v56, v74
	v_add_f32_e32 v19, v1, v20
	v_fmac_f32_e32 v12, 0x3f167918, v67
	v_fmac_f32_e32 v62, 0xbf167918, v67
	v_add_f32_e32 v0, v15, v7
	v_sub_f32_e32 v6, v15, v7
	v_fmac_f32_e32 v11, 0x3e9e377a, v5
	v_fmac_f32_e32 v26, 0x3e9e377a, v5
	v_mul_f32_e32 v5, 0xbe9e377a, v61
	v_mul_f32_e32 v20, 0xbe9e377a, v3
	;; [unrolled: 1-line block ×4, first 2 shown]
	v_fmac_f32_e32 v53, 0x3f167918, v54
	v_mul_f32_e32 v21, 0xbf4f1bbd, v2
	v_mul_f32_e32 v27, 0xbf4f1bbd, v30
	v_fmac_f32_e32 v60, 0x3e9e377a, v55
	v_fmac_f32_e32 v4, 0x3f167918, v14
	;; [unrolled: 1-line block ×14, first 2 shown]
	v_add_f32_e32 v1, v19, v8
	v_add_f32_e32 v2, v11, v4
	;; [unrolled: 1-line block ×3, first 2 shown]
	v_sub_f32_e32 v10, v12, v15
	v_add_f32_e32 v12, v12, v15
	v_add_f32_e32 v14, v62, v5
	;; [unrolled: 1-line block ×4, first 2 shown]
	v_sub_f32_e32 v7, v19, v8
	v_sub_f32_e32 v8, v11, v4
	v_add_f32_e32 v4, v26, v21
	v_sub_f32_e32 v19, v62, v5
	v_add_f32_e32 v5, v53, v27
	v_sub_f32_e32 v9, v60, v22
	v_sub_f32_e32 v11, v65, v25
	;; [unrolled: 1-line block ×5, first 2 shown]
	ds_write_b128 v90, v[0:3]
	ds_write_b128 v90, v[12:15] offset:16
	ds_write_b128 v90, v[4:7] offset:32
	;; [unrolled: 1-line block ×4, first 2 shown]
	s_waitcnt lgkmcnt(0)
	s_barrier
	buffer_gl0_inv
	s_clause 0x4
	global_load_dwordx4 v[0:3], v[23:24], off
	global_load_dwordx4 v[4:7], v[23:24], off offset:16
	global_load_dwordx4 v[8:11], v[23:24], off offset:32
	;; [unrolled: 1-line block ×3, first 2 shown]
	global_load_dwordx2 v[53:54], v[23:24], off offset:64
	ds_read2_b64 v[19:22], v89 offset0:40 offset1:60
	ds_read2_b64 v[23:26], v89 offset0:80 offset1:100
	ds_read2_b64 v[27:30], v89 offset0:120 offset1:140
	ds_read2_b64 v[55:58], v89 offset0:160 offset1:180
	ds_read2_b64 v[59:62], v89 offset1:20
	v_add_nc_u32_e32 v17, v31, v17
	s_waitcnt vmcnt(0) lgkmcnt(0)
	s_barrier
	buffer_gl0_inv
	v_lshl_add_u32 v91, v17, 3, v18
	v_mul_f32_e32 v17, v20, v3
	v_mul_f32_e32 v18, v19, v3
	;; [unrolled: 1-line block ×18, first 2 shown]
	v_fma_f32 v17, v19, v2, -v17
	v_fmac_f32_e32 v18, v20, v2
	v_fma_f32 v19, v21, v4, -v31
	v_fmac_f32_e32 v63, v22, v4
	;; [unrolled: 2-line block ×9, first 2 shown]
	v_add_f32_e32 v27, v20, v22
	v_add_f32_e32 v28, v17, v24
	v_sub_f32_e32 v58, v18, v65
	v_sub_f32_e32 v61, v73, v69
	v_add_f32_e32 v70, v21, v23
	v_add_f32_e32 v72, v67, v71
	v_sub_f32_e32 v62, v19, v21
	v_sub_f32_e32 v66, v63, v67
	;; [unrolled: 1-line block ×4, first 2 shown]
	v_add_f32_e32 v80, v26, v19
	v_add_f32_e32 v81, v77, v63
	v_sub_f32_e32 v92, v21, v19
	v_add_f32_e32 v19, v19, v25
	v_sub_f32_e32 v94, v67, v63
	v_add_f32_e32 v63, v63, v75
	v_add_f32_e32 v29, v65, v69
	;; [unrolled: 1-line block ×4, first 2 shown]
	v_sub_f32_e32 v64, v25, v23
	v_fma_f32 v97, -0.5, v27, v59
	v_fma_f32 v59, -0.5, v28, v59
	v_add_f32_e32 v28, v58, v61
	v_fma_f32 v58, -0.5, v70, v26
	v_fma_f32 v61, -0.5, v72, v77
	v_add_f32_e32 v30, v18, v73
	v_sub_f32_e32 v56, v17, v20
	v_sub_f32_e32 v57, v24, v22
	;; [unrolled: 1-line block ×7, first 2 shown]
	v_add_f32_e32 v21, v80, v21
	v_fmac_f32_e32 v26, -0.5, v19
	v_fmac_f32_e32 v77, -0.5, v63
	v_sub_f32_e32 v68, v75, v71
	v_sub_f32_e32 v82, v20, v17
	;; [unrolled: 1-line block ×3, first 2 shown]
	v_fma_f32 v98, -0.5, v29, v60
	v_add_f32_e32 v29, v62, v64
	v_add_f32_e32 v55, v55, v65
	;; [unrolled: 1-line block ×3, first 2 shown]
	v_fmamk_f32 v62, v74, 0xbf737871, v61
	v_fmamk_f32 v63, v78, 0x3f737871, v58
	v_sub_f32_e32 v85, v65, v69
	v_sub_f32_e32 v93, v23, v25
	v_sub_f32_e32 v95, v71, v75
	v_add_f32_e32 v27, v56, v57
	v_add_f32_e32 v57, v18, v86
	;; [unrolled: 1-line block ×4, first 2 shown]
	v_fmamk_f32 v23, v79, 0xbf737871, v26
	v_fmac_f32_e32 v26, 0x3f737871, v79
	v_fmamk_f32 v67, v76, 0x3f737871, v77
	v_fmac_f32_e32 v77, 0xbf737871, v76
	v_fmac_f32_e32 v58, 0xbf737871, v78
	;; [unrolled: 1-line block ×3, first 2 shown]
	v_sub_f32_e32 v83, v22, v24
	v_sub_f32_e32 v96, v20, v22
	v_fma_f32 v60, -0.5, v30, v60
	v_add_f32_e32 v30, v66, v68
	v_add_f32_e32 v19, v19, v22
	;; [unrolled: 1-line block ×3, first 2 shown]
	v_fmamk_f32 v55, v84, 0x3f737871, v97
	v_fmamk_f32 v64, v17, 0xbf737871, v98
	v_fmac_f32_e32 v97, 0xbf737871, v84
	v_fmac_f32_e32 v98, 0x3f737871, v17
	;; [unrolled: 1-line block ×4, first 2 shown]
	v_add_f32_e32 v20, v92, v93
	v_add_f32_e32 v31, v94, v95
	v_fmamk_f32 v65, v85, 0xbf737871, v59
	v_fmac_f32_e32 v59, 0x3f737871, v85
	v_fmac_f32_e32 v23, 0x3f167918, v78
	;; [unrolled: 1-line block ×13, first 2 shown]
	v_add_f32_e32 v56, v82, v83
	v_fmamk_f32 v66, v96, 0x3f737871, v60
	v_fmac_f32_e32 v60, 0xbf737871, v96
	v_fmac_f32_e32 v65, 0x3f167918, v84
	;; [unrolled: 1-line block ×9, first 2 shown]
	v_add_f32_e32 v18, v18, v71
	v_fmac_f32_e32 v55, 0x3e9e377a, v27
	v_fmac_f32_e32 v64, 0x3e9e377a, v28
	;; [unrolled: 1-line block ×4, first 2 shown]
	v_mul_f32_e32 v27, 0x3f167918, v62
	v_mul_f32_e32 v28, 0xbf167918, v63
	v_fmac_f32_e32 v66, 0xbf167918, v17
	v_fmac_f32_e32 v60, 0x3f167918, v17
	v_fmac_f32_e32 v65, 0x3e9e377a, v56
	v_fmac_f32_e32 v59, 0x3e9e377a, v56
	v_mul_f32_e32 v29, 0x3f737871, v67
	v_mul_f32_e32 v30, 0xbf737871, v23
	;; [unrolled: 1-line block ×6, first 2 shown]
	v_add_f32_e32 v19, v19, v24
	v_add_f32_e32 v22, v22, v73
	;; [unrolled: 1-line block ×4, first 2 shown]
	v_fmac_f32_e32 v27, 0x3f4f1bbd, v63
	v_fmac_f32_e32 v28, 0x3f4f1bbd, v62
	;; [unrolled: 1-line block ×10, first 2 shown]
	v_add_f32_e32 v17, v19, v21
	v_add_f32_e32 v18, v22, v24
	v_sub_f32_e32 v19, v19, v21
	v_sub_f32_e32 v20, v22, v24
	v_add_f32_e32 v21, v55, v27
	v_add_f32_e32 v22, v64, v28
	;; [unrolled: 1-line block ×8, first 2 shown]
	v_sub_f32_e32 v27, v55, v27
	v_sub_f32_e32 v28, v64, v28
	;; [unrolled: 1-line block ×8, first 2 shown]
	ds_write2_b64 v91, v[17:18], v[21:22] offset1:10
	ds_write2_b64 v91, v[23:24], v[25:26] offset0:20 offset1:30
	ds_write2_b64 v91, v[57:58], v[19:20] offset0:40 offset1:50
	;; [unrolled: 1-line block ×4, first 2 shown]
	s_waitcnt lgkmcnt(0)
	s_barrier
	buffer_gl0_inv
	s_clause 0x4
	global_load_dwordx2 v[55:56], v16, s[10:11] offset:880
	global_load_dwordx2 v[57:58], v16, s[10:11] offset:1040
	;; [unrolled: 1-line block ×5, first 2 shown]
	ds_read2_b64 v[17:20], v89 offset0:120 offset1:140
	ds_read2_b64 v[21:24], v89 offset0:160 offset1:180
	;; [unrolled: 1-line block ×3, first 2 shown]
	ds_read2_b64 v[65:68], v89 offset1:20
	ds_read2_b64 v[69:72], v89 offset0:40 offset1:60
	v_mad_u64_u32 v[85:86], null, s2, v52, 0
	s_mul_i32 s2, s0, 0xa0
	s_waitcnt vmcnt(4) lgkmcnt(4)
	v_mul_f32_e32 v29, v18, v56
	v_mul_f32_e32 v30, v17, v56
	s_waitcnt vmcnt(3)
	v_mul_f32_e32 v31, v20, v58
	v_mul_f32_e32 v73, v19, v58
	s_waitcnt vmcnt(0) lgkmcnt(2)
	v_mul_f32_e32 v77, v28, v64
	v_mul_f32_e32 v78, v27, v64
	;; [unrolled: 1-line block ×6, first 2 shown]
	v_fma_f32 v29, v17, v55, -v29
	v_fmac_f32_e32 v30, v18, v55
	v_fma_f32 v17, v27, v63, -v77
	v_fmac_f32_e32 v78, v28, v63
	;; [unrolled: 2-line block ×5, first 2 shown]
	s_waitcnt lgkmcnt(1)
	v_sub_f32_e32 v17, v65, v17
	v_sub_f32_e32 v18, v66, v78
	;; [unrolled: 1-line block ×4, first 2 shown]
	s_waitcnt lgkmcnt(0)
	v_sub_f32_e32 v21, v69, v31
	v_sub_f32_e32 v22, v70, v73
	;; [unrolled: 1-line block ×6, first 2 shown]
	v_fma_f32 v29, v65, 2.0, -v17
	v_fma_f32 v30, v66, 2.0, -v18
	;; [unrolled: 1-line block ×10, first 2 shown]
	ds_write_b64 v89, v[17:18] offset:800
	ds_write2_b64 v89, v[29:30], v[65:66] offset1:20
	ds_write2_b64 v89, v[19:20], v[21:22] offset0:120 offset1:140
	ds_write2_b64 v89, v[67:68], v[69:70] offset0:40 offset1:60
	ds_write_b64 v89, v[25:26] offset:640
	ds_write2_b64 v89, v[23:24], v[27:28] offset0:160 offset1:180
	s_waitcnt lgkmcnt(0)
	s_barrier
	buffer_gl0_inv
	s_clause 0x9
	global_load_dwordx2 v[65:66], v16, s[8:9] offset:1600
	global_load_dwordx2 v[73:74], v16, s[6:7] offset:160
	;; [unrolled: 1-line block ×10, first 2 shown]
	ds_read2_b64 v[24:27], v89 offset1:20
	ds_read2_b64 v[16:19], v89 offset0:40 offset1:60
	ds_read2_b64 v[20:23], v89 offset0:80 offset1:100
	;; [unrolled: 1-line block ×4, first 2 shown]
	s_load_dwordx2 s[6:7], s[4:5], 0x38
	s_mul_i32 s8, s1, 0xa0
	s_mov_b32 s4, 0x47ae147b
	s_mov_b32 s5, 0x3f747ae1
	s_waitcnt vmcnt(9) lgkmcnt(0)
	v_mul_f32_e32 v96, v25, v66
	v_mul_f32_e32 v97, v24, v66
	s_waitcnt vmcnt(8)
	v_mul_f32_e32 v98, v27, v74
	v_mul_f32_e32 v66, v26, v74
	s_waitcnt vmcnt(7)
	;; [unrolled: 3-line block ×3, first 2 shown]
	v_mul_f32_e32 v100, v19, v70
	v_mul_f32_e32 v72, v18, v70
	v_fma_f32 v96, v24, v65, -v96
	v_fmac_f32_e32 v97, v25, v65
	s_waitcnt vmcnt(5)
	v_mul_f32_e32 v24, v21, v68
	v_fma_f32 v65, v26, v73, -v98
	v_mul_f32_e32 v25, v20, v68
	v_fmac_f32_e32 v66, v27, v73
	s_waitcnt vmcnt(4)
	v_mul_f32_e32 v26, v23, v84
	v_mul_f32_e32 v27, v22, v84
	s_waitcnt vmcnt(3)
	v_mul_f32_e32 v84, v29, v82
	v_mul_f32_e32 v68, v28, v82
	v_fma_f32 v73, v16, v71, -v99
	s_waitcnt vmcnt(2)
	v_mul_f32_e32 v16, v31, v80
	v_fmac_f32_e32 v74, v17, v71
	v_mul_f32_e32 v17, v30, v80
	v_fma_f32 v71, v18, v69, -v100
	s_waitcnt vmcnt(1)
	v_mul_f32_e32 v18, v93, v78
	v_fmac_f32_e32 v72, v19, v69
	v_mul_f32_e32 v19, v92, v78
	s_waitcnt vmcnt(0)
	v_mul_f32_e32 v69, v95, v76
	v_mul_f32_e32 v70, v94, v76
	v_fma_f32 v24, v20, v67, -v24
	v_fmac_f32_e32 v25, v21, v67
	v_fma_f32 v26, v22, v83, -v26
	v_fmac_f32_e32 v27, v23, v83
	;; [unrolled: 2-line block ×6, first 2 shown]
	ds_write2_b64 v89, v[96:97], v[65:66] offset1:20
	ds_write2_b64 v89, v[73:74], v[71:72] offset0:40 offset1:60
	ds_write2_b64 v89, v[24:25], v[26:27] offset0:80 offset1:100
	;; [unrolled: 1-line block ×4, first 2 shown]
	v_mad_u64_u32 v[69:70], null, s0, v88, 0
	v_mov_b32_e32 v65, v86
	s_waitcnt lgkmcnt(0)
	s_barrier
	buffer_gl0_inv
	ds_read2_b64 v[16:19], v89 offset1:20
	ds_read2_b64 v[20:23], v89 offset0:40 offset1:60
	ds_read2_b64 v[24:27], v89 offset0:80 offset1:100
	;; [unrolled: 1-line block ×3, first 2 shown]
	v_mov_b32_e32 v66, v70
	v_mad_u64_u32 v[70:71], null, s3, v52, v[65:66]
	v_mad_u64_u32 v[71:72], null, s1, v88, v[66:67]
	ds_read2_b64 v[65:68], v89 offset0:160 offset1:180
	s_waitcnt lgkmcnt(0)
	s_barrier
	buffer_gl0_inv
	s_mul_hi_u32 s3, s0, 0xa0
	s_add_i32 s3, s3, s8
	v_add_f32_e32 v72, v17, v21
	v_add_f32_e32 v83, v26, v30
	;; [unrolled: 1-line block ×4, first 2 shown]
	v_sub_f32_e32 v94, v23, v27
	v_sub_f32_e32 v95, v27, v23
	v_add_f32_e32 v52, v16, v20
	v_add_f32_e32 v73, v18, v22
	v_sub_f32_e32 v76, v25, v29
	v_sub_f32_e32 v77, v20, v24
	v_add_f32_e32 v79, v25, v29
	v_sub_f32_e32 v98, v23, v68
	v_add_f32_e32 v23, v23, v68
	v_sub_f32_e32 v81, v21, v25
	v_sub_f32_e32 v82, v25, v21
	;; [unrolled: 1-line block ×5, first 2 shown]
	v_add_f32_e32 v97, v20, v65
	v_add_f32_e32 v21, v21, v66
	;; [unrolled: 1-line block ×3, first 2 shown]
	v_sub_f32_e32 v22, v22, v67
	v_sub_f32_e32 v100, v65, v28
	;; [unrolled: 1-line block ×4, first 2 shown]
	v_add_f32_e32 v25, v72, v25
	v_sub_f32_e32 v72, v31, v68
	v_fma_f32 v92, -0.5, v92, v19
	v_fma_f32 v83, -0.5, v83, v18
	v_add_f32_e32 v75, v24, v28
	v_sub_f32_e32 v93, v26, v30
	v_fmac_f32_e32 v19, -0.5, v23
	v_sub_f32_e32 v78, v24, v20
	v_sub_f32_e32 v80, v24, v28
	;; [unrolled: 1-line block ×3, first 2 shown]
	v_add_f32_e32 v24, v52, v24
	v_add_f32_e32 v26, v73, v26
	;; [unrolled: 1-line block ×3, first 2 shown]
	v_sub_f32_e32 v52, v67, v30
	v_sub_f32_e32 v74, v68, v31
	v_add_f32_e32 v72, v95, v72
	v_fma_f32 v79, -0.5, v79, v17
	v_fma_f32 v95, -0.5, v97, v16
	;; [unrolled: 1-line block ×3, first 2 shown]
	v_add_f32_e32 v21, v77, v100
	v_add_f32_e32 v77, v81, v102
	;; [unrolled: 1-line block ×4, first 2 shown]
	v_fmamk_f32 v29, v22, 0x3f737871, v92
	v_fmamk_f32 v82, v98, 0xbf737871, v83
	v_fma_f32 v75, -0.5, v75, v16
	v_fma_f32 v18, -0.5, v99, v18
	v_fmamk_f32 v25, v93, 0xbf737871, v19
	v_fmac_f32_e32 v19, 0x3f737871, v93
	v_fmac_f32_e32 v92, 0xbf737871, v22
	v_sub_f32_e32 v20, v20, v65
	v_add_f32_e32 v52, v86, v52
	v_add_f32_e32 v74, v94, v74
	;; [unrolled: 1-line block ×4, first 2 shown]
	v_fmac_f32_e32 v29, 0x3f167918, v93
	v_fmac_f32_e32 v82, 0xbf167918, v84
	v_sub_f32_e32 v73, v30, v67
	v_add_f32_e32 v24, v27, v31
	v_fmamk_f32 v26, v96, 0xbf737871, v75
	v_fmac_f32_e32 v75, 0x3f737871, v96
	v_fmamk_f32 v30, v84, 0x3f737871, v18
	v_fmac_f32_e32 v18, 0xbf737871, v84
	v_fmac_f32_e32 v83, 0x3f737871, v98
	;; [unrolled: 1-line block ×5, first 2 shown]
	v_sub_f32_e32 v101, v28, v65
	v_fmamk_f32 v31, v80, 0xbf737871, v97
	v_fmac_f32_e32 v97, 0x3f737871, v80
	v_fmamk_f32 v28, v20, 0x3f737871, v79
	v_add_f32_e32 v65, v16, v65
	v_add_f32_e32 v23, v23, v67
	v_fmac_f32_e32 v29, 0x3e9e377a, v74
	v_fmac_f32_e32 v82, 0x3e9e377a, v52
	v_add_f32_e32 v73, v88, v73
	v_fmamk_f32 v27, v76, 0x3f737871, v95
	v_fmac_f32_e32 v95, 0xbf737871, v76
	v_add_f32_e32 v66, v17, v66
	v_add_f32_e32 v24, v24, v68
	v_fmac_f32_e32 v30, 0xbf167918, v98
	v_fmac_f32_e32 v18, 0x3f167918, v98
	;; [unrolled: 1-line block ×12, first 2 shown]
	v_add_f32_e32 v16, v65, v23
	v_sub_f32_e32 v22, v65, v23
	v_mul_f32_e32 v20, 0xbf167918, v29
	v_mul_f32_e32 v65, 0x3f167918, v82
	v_add_f32_e32 v78, v78, v101
	v_fmac_f32_e32 v27, 0xbf167918, v96
	v_fmac_f32_e32 v95, 0x3f167918, v96
	v_add_f32_e32 v17, v66, v24
	v_sub_f32_e32 v23, v66, v24
	v_fmac_f32_e32 v30, 0x3e9e377a, v73
	v_fmac_f32_e32 v18, 0x3e9e377a, v73
	;; [unrolled: 1-line block ×5, first 2 shown]
	v_mul_f32_e32 v21, 0xbf737871, v19
	v_mul_f32_e32 v52, 0xbe9e377a, v19
	;; [unrolled: 1-line block ×4, first 2 shown]
	v_fmac_f32_e32 v79, 0xbf167918, v80
	v_mul_f32_e32 v68, 0xbf167918, v92
	v_mul_f32_e32 v72, 0xbf4f1bbd, v92
	v_fmac_f32_e32 v28, 0x3e9e377a, v77
	v_fmac_f32_e32 v20, 0x3f4f1bbd, v82
	;; [unrolled: 1-line block ×14, first 2 shown]
	v_add_f32_e32 v18, v26, v20
	v_add_f32_e32 v19, v28, v65
	v_sub_f32_e32 v24, v26, v20
	v_sub_f32_e32 v26, v27, v66
	;; [unrolled: 1-line block ×3, first 2 shown]
	v_add_f32_e32 v28, v27, v66
	v_add_f32_e32 v30, v95, v21
	;; [unrolled: 1-line block ×3, first 2 shown]
	v_sub_f32_e32 v27, v31, v67
	v_add_f32_e32 v31, v97, v52
	v_mov_b32_e32 v86, v70
	v_mov_b32_e32 v70, v71
	v_add_f32_e32 v20, v75, v68
	v_sub_f32_e32 v65, v95, v21
	v_add_f32_e32 v21, v79, v72
	v_sub_f32_e32 v67, v75, v68
	v_sub_f32_e32 v66, v97, v52
	;; [unrolled: 1-line block ×3, first 2 shown]
	ds_write_b128 v90, v[16:19]
	ds_write_b128 v90, v[28:31] offset:16
	ds_write_b128 v90, v[20:23] offset:32
	ds_write_b128 v90, v[24:27] offset:48
	ds_write_b128 v90, v[65:68] offset:64
	s_waitcnt lgkmcnt(0)
	s_barrier
	buffer_gl0_inv
	ds_read2_b64 v[18:21], v89 offset0:160 offset1:180
	ds_read2_b64 v[22:25], v89 offset0:120 offset1:140
	;; [unrolled: 1-line block ×4, first 2 shown]
	v_lshlrev_b64 v[73:74], 3, v[69:70]
	ds_read2_b64 v[69:72], v89 offset1:20
	v_lshlrev_b64 v[30:31], 3, v[85:86]
	v_mad_u64_u32 v[16:17], null, s0, v87, 0
	s_waitcnt lgkmcnt(0)
	s_barrier
	buffer_gl0_inv
	v_add_co_u32 v75, vcc_lo, s6, v30
	v_add_co_ci_u32_e32 v76, vcc_lo, s7, v31, vcc_lo
	v_mul_f32_e32 v30, v54, v21
	v_mul_f32_e32 v31, v54, v20
	;; [unrolled: 1-line block ×17, first 2 shown]
	v_fmac_f32_e32 v54, v12, v24
	v_fma_f32 v12, v12, v25, -v13
	v_fmac_f32_e32 v77, v10, v22
	v_fmac_f32_e32 v78, v8, v28
	v_fma_f32 v8, v8, v29, -v9
	v_fmac_f32_e32 v79, v6, v26
	v_fmac_f32_e32 v81, v2, v65
	v_mul_f32_e32 v15, v15, v18
	v_fmac_f32_e32 v30, v53, v20
	v_fma_f32 v20, v53, v21, -v31
	v_fmac_f32_e32 v80, v4, v67
	v_fma_f32 v4, v4, v68, -v5
	v_fma_f32 v5, v0, v72, -v1
	v_fmac_f32_e32 v52, v14, v18
	v_fma_f32 v10, v10, v23, -v11
	v_fma_f32 v6, v6, v27, -v7
	;; [unrolled: 1-line block ×3, first 2 shown]
	v_fmac_f32_e32 v82, v0, v71
	v_add_f32_e32 v0, v79, v77
	v_add_f32_e32 v9, v69, v81
	;; [unrolled: 1-line block ×3, first 2 shown]
	v_fma_f32 v14, v14, v19, -v15
	v_sub_f32_e32 v23, v4, v8
	v_sub_f32_e32 v29, v4, v20
	v_add_f32_e32 v65, v5, v4
	v_sub_f32_e32 v86, v8, v4
	v_add_f32_e32 v4, v4, v20
	v_add_f32_e32 v1, v81, v52
	;; [unrolled: 1-line block ×4, first 2 shown]
	v_sub_f32_e32 v13, v81, v79
	v_sub_f32_e32 v15, v52, v77
	;; [unrolled: 1-line block ×4, first 2 shown]
	v_add_f32_e32 v25, v78, v54
	v_sub_f32_e32 v27, v80, v30
	v_add_f32_e32 v53, v82, v80
	v_fma_f32 v90, -0.5, v0, v69
	v_add_f32_e32 v0, v9, v79
	v_fma_f32 v9, -0.5, v26, v5
	v_add_f32_e32 v7, v2, v14
	v_sub_f32_e32 v28, v78, v54
	v_sub_f32_e32 v84, v78, v80
	v_add_f32_e32 v80, v80, v30
	v_fmac_f32_e32 v5, -0.5, v4
	v_sub_f32_e32 v18, v2, v6
	v_sub_f32_e32 v24, v20, v12
	;; [unrolled: 1-line block ×7, first 2 shown]
	v_fma_f32 v69, -0.5, v1, v69
	v_fma_f32 v92, -0.5, v3, v70
	v_add_f32_e32 v3, v13, v15
	v_add_f32_e32 v13, v21, v22
	;; [unrolled: 1-line block ×3, first 2 shown]
	v_fma_f32 v6, -0.5, v25, v82
	v_add_f32_e32 v11, v53, v78
	v_add_f32_e32 v8, v65, v8
	v_fmamk_f32 v21, v27, 0x3f737871, v9
	v_sub_f32_e32 v71, v79, v77
	v_sub_f32_e32 v88, v12, v20
	v_fma_f32 v70, -0.5, v7, v70
	v_fmac_f32_e32 v82, -0.5, v80
	v_fmamk_f32 v26, v28, 0xbf737871, v5
	v_fmac_f32_e32 v5, 0x3f737871, v28
	v_fmac_f32_e32 v9, 0xbf737871, v27
	v_sub_f32_e32 v19, v14, v10
	v_sub_f32_e32 v83, v10, v14
	v_add_f32_e32 v15, v23, v24
	v_fmamk_f32 v22, v29, 0xbf737871, v6
	v_add_f32_e32 v1, v1, v10
	v_add_f32_e32 v10, v11, v54
	v_add_f32_e32 v8, v8, v12
	v_fmamk_f32 v11, v66, 0xbf737871, v90
	v_fmamk_f32 v12, v68, 0x3f737871, v92
	v_fmac_f32_e32 v90, 0x3f737871, v66
	v_fmac_f32_e32 v92, 0xbf737871, v68
	v_fmac_f32_e32 v21, 0x3f167918, v28
	v_sub_f32_e32 v85, v54, v30
	v_add_f32_e32 v4, v86, v88
	v_add_f32_e32 v0, v0, v77
	v_fmamk_f32 v24, v71, 0xbf737871, v70
	v_fmac_f32_e32 v70, 0x3f737871, v71
	v_fmac_f32_e32 v6, 0x3f737871, v29
	v_fmamk_f32 v25, v31, 0x3f737871, v82
	v_fmac_f32_e32 v82, 0xbf737871, v31
	v_fmac_f32_e32 v26, 0x3f167918, v27
	;; [unrolled: 1-line block ×4, first 2 shown]
	v_add_f32_e32 v7, v18, v19
	v_fmac_f32_e32 v22, 0xbf167918, v31
	v_fmac_f32_e32 v11, 0xbf167918, v67
	;; [unrolled: 1-line block ×3, first 2 shown]
	v_add_f32_e32 v14, v1, v14
	v_add_f32_e32 v8, v8, v20
	v_fmac_f32_e32 v90, 0x3f167918, v67
	v_fmac_f32_e32 v92, 0xbf167918, v71
	;; [unrolled: 1-line block ×3, first 2 shown]
	v_sub_f32_e32 v72, v79, v81
	v_sub_f32_e32 v81, v77, v52
	v_add_f32_e32 v2, v2, v83
	v_add_f32_e32 v19, v84, v85
	v_fmamk_f32 v23, v67, 0x3f737871, v69
	v_fmac_f32_e32 v69, 0xbf737871, v67
	v_add_f32_e32 v52, v0, v52
	v_add_f32_e32 v10, v10, v30
	v_fmac_f32_e32 v24, 0x3f167918, v68
	v_fmac_f32_e32 v70, 0xbf167918, v68
	;; [unrolled: 1-line block ×11, first 2 shown]
	v_add_f32_e32 v1, v14, v8
	v_fmac_f32_e32 v90, 0x3e9e377a, v3
	v_fmac_f32_e32 v92, 0x3e9e377a, v7
	v_sub_f32_e32 v3, v14, v8
	v_mul_f32_e32 v7, 0xbf167918, v21
	v_mul_f32_e32 v8, 0x3f4f1bbd, v21
	v_add_f32_e32 v18, v72, v81
	v_fmac_f32_e32 v23, 0xbf167918, v66
	v_fmac_f32_e32 v69, 0x3f167918, v66
	v_add_f32_e32 v0, v52, v10
	v_fmac_f32_e32 v24, 0x3e9e377a, v2
	v_fmac_f32_e32 v70, 0x3e9e377a, v2
	;; [unrolled: 1-line block ×4, first 2 shown]
	v_sub_f32_e32 v2, v52, v10
	v_fmac_f32_e32 v82, 0x3e9e377a, v19
	v_mul_f32_e32 v10, 0xbf737871, v26
	v_mul_f32_e32 v13, 0x3e9e377a, v26
	;; [unrolled: 1-line block ×6, first 2 shown]
	v_fmac_f32_e32 v7, 0x3f4f1bbd, v22
	v_fmac_f32_e32 v8, 0x3f167918, v22
	;; [unrolled: 1-line block ×10, first 2 shown]
	v_add_f32_e32 v4, v11, v7
	v_add_f32_e32 v5, v12, v8
	v_sub_f32_e32 v6, v11, v7
	v_sub_f32_e32 v7, v12, v8
	v_add_f32_e32 v8, v23, v10
	v_add_f32_e32 v9, v24, v13
	v_sub_f32_e32 v11, v24, v13
	v_add_f32_e32 v12, v69, v14
	v_add_f32_e32 v13, v70, v15
	v_add_f32_e32 v18, v90, v20
	v_add_f32_e32 v19, v92, v21
	v_sub_f32_e32 v10, v23, v10
	v_sub_f32_e32 v14, v69, v14
	;; [unrolled: 1-line block ×5, first 2 shown]
	ds_write2_b64 v91, v[0:1], v[4:5] offset1:10
	ds_write2_b64 v91, v[8:9], v[12:13] offset0:20 offset1:30
	ds_write2_b64 v91, v[18:19], v[2:3] offset0:40 offset1:50
	;; [unrolled: 1-line block ×4, first 2 shown]
	s_waitcnt lgkmcnt(0)
	s_barrier
	buffer_gl0_inv
	ds_read2_b64 v[0:3], v89 offset0:120 offset1:140
	ds_read2_b64 v[4:7], v89 offset0:80 offset1:100
	;; [unrolled: 1-line block ×3, first 2 shown]
	v_mov_b32_e32 v12, v17
	v_add_co_u32 v21, vcc_lo, v75, v73
	v_add_co_ci_u32_e32 v22, vcc_lo, v76, v74, vcc_lo
	v_mad_u64_u32 v[25:26], null, s1, v87, v[12:13]
	ds_read2_b64 v[12:15], v89 offset1:20
	ds_read2_b64 v[17:20], v89 offset0:40 offset1:60
	v_add_co_u32 v23, vcc_lo, v21, s2
	v_add_co_ci_u32_e32 v24, vcc_lo, s3, v22, vcc_lo
	v_add_co_u32 v26, vcc_lo, v23, s2
	v_add_co_ci_u32_e32 v27, vcc_lo, s3, v24, vcc_lo
	s_waitcnt lgkmcnt(4)
	v_mul_f32_e32 v28, v56, v1
	v_mul_f32_e32 v29, v56, v0
	s_waitcnt lgkmcnt(3)
	v_mul_f32_e32 v52, v64, v7
	v_mul_f32_e32 v53, v64, v6
	;; [unrolled: 1-line block ×4, first 2 shown]
	s_waitcnt lgkmcnt(2)
	v_mul_f32_e32 v54, v60, v9
	v_mul_f32_e32 v56, v60, v8
	;; [unrolled: 1-line block ×4, first 2 shown]
	v_fmac_f32_e32 v28, v55, v0
	v_fma_f32 v29, v55, v1, -v29
	v_fmac_f32_e32 v52, v63, v6
	v_fma_f32 v1, v63, v7, -v53
	;; [unrolled: 2-line block ×5, first 2 shown]
	s_waitcnt lgkmcnt(1)
	v_sub_f32_e32 v0, v12, v52
	v_sub_f32_e32 v1, v13, v1
	;; [unrolled: 1-line block ×4, first 2 shown]
	s_waitcnt lgkmcnt(0)
	v_sub_f32_e32 v6, v17, v30
	v_sub_f32_e32 v7, v18, v31
	;; [unrolled: 1-line block ×6, first 2 shown]
	v_fma_f32 v12, v12, 2.0, -v0
	v_fma_f32 v13, v13, 2.0, -v1
	;; [unrolled: 1-line block ×10, first 2 shown]
	ds_write2_b64 v89, v[12:13], v[14:15] offset1:20
	ds_write2_b64 v89, v[2:3], v[6:7] offset0:120 offset1:140
	ds_write2_b64 v89, v[17:18], v[19:20] offset0:40 offset1:60
	;; [unrolled: 1-line block ×4, first 2 shown]
	s_waitcnt lgkmcnt(0)
	s_barrier
	buffer_gl0_inv
	ds_read2_b64 v[0:3], v89 offset1:20
	ds_read2_b64 v[4:7], v89 offset0:40 offset1:60
	ds_read2_b64 v[8:11], v89 offset0:80 offset1:100
	;; [unrolled: 1-line block ×4, first 2 shown]
	v_add_co_u32 v28, vcc_lo, v26, s2
	v_add_co_ci_u32_e32 v29, vcc_lo, s3, v27, vcc_lo
	v_add_co_u32 v30, vcc_lo, v28, s2
	v_add_co_ci_u32_e32 v31, vcc_lo, s3, v29, vcc_lo
	;; [unrolled: 2-line block ×3, first 2 shown]
	v_add_co_u32 v54, vcc_lo, v52, s2
	s_waitcnt lgkmcnt(4)
	v_mul_f32_e32 v58, v33, v1
	v_mul_f32_e32 v33, v33, v0
	v_mul_f32_e32 v59, v37, v3
	v_mul_f32_e32 v37, v37, v2
	s_waitcnt lgkmcnt(3)
	v_mul_f32_e32 v60, v41, v5
	v_mul_f32_e32 v41, v41, v4
	v_mul_f32_e32 v61, v39, v7
	v_mul_f32_e32 v39, v39, v6
	;; [unrolled: 5-line block ×3, first 2 shown]
	v_fmac_f32_e32 v58, v32, v0
	v_fma_f32 v32, v32, v1, -v33
	s_waitcnt lgkmcnt(1)
	v_mul_f32_e32 v64, v49, v13
	v_mul_f32_e32 v49, v49, v12
	v_fmac_f32_e32 v59, v36, v2
	v_fma_f32 v33, v36, v3, -v37
	v_mul_f32_e32 v65, v51, v15
	v_mul_f32_e32 v51, v51, v14
	v_fmac_f32_e32 v60, v40, v4
	v_fma_f32 v36, v40, v5, -v41
	s_waitcnt lgkmcnt(0)
	v_mul_f32_e32 v66, v35, v18
	v_mul_f32_e32 v35, v35, v17
	v_fmac_f32_e32 v61, v38, v6
	v_fma_f32 v37, v38, v7, -v39
	v_mul_f32_e32 v67, v45, v20
	v_mul_f32_e32 v45, v45, v19
	v_fmac_f32_e32 v62, v42, v8
	v_fma_f32 v38, v42, v9, -v43
	v_fmac_f32_e32 v63, v46, v10
	v_fma_f32 v39, v46, v11, -v47
	v_cvt_f64_f32_e32 v[0:1], v58
	v_cvt_f64_f32_e32 v[2:3], v32
	v_fmac_f32_e32 v64, v48, v12
	v_fma_f32 v40, v48, v13, -v49
	v_cvt_f64_f32_e32 v[4:5], v59
	v_cvt_f64_f32_e32 v[6:7], v33
	;; [unrolled: 4-line block ×5, first 2 shown]
	v_cvt_f64_f32_e32 v[32:33], v63
	v_cvt_f64_f32_e32 v[34:35], v39
	;; [unrolled: 1-line block ×10, first 2 shown]
	v_mul_f64 v[0:1], v[0:1], s[4:5]
	v_mul_f64 v[2:3], v[2:3], s[4:5]
	;; [unrolled: 1-line block ×8, first 2 shown]
	v_add_co_ci_u32_e32 v55, vcc_lo, s3, v53, vcc_lo
	v_mul_f64 v[60:61], v[17:18], s[4:5]
	v_mul_f64 v[18:19], v[19:20], s[4:5]
	v_mul_f64 v[32:33], v[32:33], s[4:5]
	v_mul_f64 v[34:35], v[34:35], s[4:5]
	v_mul_f64 v[36:37], v[36:37], s[4:5]
	v_mul_f64 v[38:39], v[38:39], s[4:5]
	v_mul_f64 v[40:41], v[40:41], s[4:5]
	v_mul_f64 v[42:43], v[42:43], s[4:5]
	v_mul_f64 v[44:45], v[44:45], s[4:5]
	v_mul_f64 v[46:47], v[46:47], s[4:5]
	v_mul_f64 v[48:49], v[48:49], s[4:5]
	v_mul_f64 v[50:51], v[50:51], s[4:5]
	v_add_co_u32 v56, vcc_lo, v54, s2
	v_add_co_ci_u32_e32 v57, vcc_lo, s3, v55, vcc_lo
	v_cvt_f32_f64_e32 v0, v[0:1]
	v_cvt_f32_f64_e32 v1, v[2:3]
	v_cvt_f32_f64_e32 v2, v[4:5]
	v_mad_u64_u32 v[58:59], null, 0x140, s0, v[56:57]
	v_cvt_f32_f64_e32 v3, v[6:7]
	v_cvt_f32_f64_e32 v4, v[8:9]
	;; [unrolled: 1-line block ×15, first 2 shown]
	v_mov_b32_e32 v17, v25
	v_mov_b32_e32 v20, v59
	v_cvt_f32_f64_e32 v32, v[48:49]
	v_cvt_f32_f64_e32 v33, v[50:51]
	v_lshlrev_b64 v[16:17], 3, v[16:17]
	v_mad_u64_u32 v[34:35], null, 0x140, s1, v[20:21]
	v_add_co_u32 v16, vcc_lo, v75, v16
	v_add_co_ci_u32_e32 v17, vcc_lo, v76, v17, vcc_lo
	v_mov_b32_e32 v59, v34
	global_store_dwordx2 v[21:22], v[0:1], off
	global_store_dwordx2 v[23:24], v[2:3], off
	;; [unrolled: 1-line block ×10, first 2 shown]
.LBB0_2:
	s_endpgm
	.section	.rodata,"a",@progbits
	.p2align	6, 0x0
	.amdhsa_kernel bluestein_single_back_len200_dim1_sp_op_CI_CI
		.amdhsa_group_segment_fixed_size 4800
		.amdhsa_private_segment_fixed_size 0
		.amdhsa_kernarg_size 104
		.amdhsa_user_sgpr_count 6
		.amdhsa_user_sgpr_private_segment_buffer 1
		.amdhsa_user_sgpr_dispatch_ptr 0
		.amdhsa_user_sgpr_queue_ptr 0
		.amdhsa_user_sgpr_kernarg_segment_ptr 1
		.amdhsa_user_sgpr_dispatch_id 0
		.amdhsa_user_sgpr_flat_scratch_init 0
		.amdhsa_user_sgpr_private_segment_size 0
		.amdhsa_wavefront_size32 1
		.amdhsa_uses_dynamic_stack 0
		.amdhsa_system_sgpr_private_segment_wavefront_offset 0
		.amdhsa_system_sgpr_workgroup_id_x 1
		.amdhsa_system_sgpr_workgroup_id_y 0
		.amdhsa_system_sgpr_workgroup_id_z 0
		.amdhsa_system_sgpr_workgroup_info 0
		.amdhsa_system_vgpr_workitem_id 0
		.amdhsa_next_free_vgpr 104
		.amdhsa_next_free_sgpr 20
		.amdhsa_reserve_vcc 1
		.amdhsa_reserve_flat_scratch 0
		.amdhsa_float_round_mode_32 0
		.amdhsa_float_round_mode_16_64 0
		.amdhsa_float_denorm_mode_32 3
		.amdhsa_float_denorm_mode_16_64 3
		.amdhsa_dx10_clamp 1
		.amdhsa_ieee_mode 1
		.amdhsa_fp16_overflow 0
		.amdhsa_workgroup_processor_mode 1
		.amdhsa_memory_ordered 1
		.amdhsa_forward_progress 0
		.amdhsa_shared_vgpr_count 0
		.amdhsa_exception_fp_ieee_invalid_op 0
		.amdhsa_exception_fp_denorm_src 0
		.amdhsa_exception_fp_ieee_div_zero 0
		.amdhsa_exception_fp_ieee_overflow 0
		.amdhsa_exception_fp_ieee_underflow 0
		.amdhsa_exception_fp_ieee_inexact 0
		.amdhsa_exception_int_div_zero 0
	.end_amdhsa_kernel
	.text
.Lfunc_end0:
	.size	bluestein_single_back_len200_dim1_sp_op_CI_CI, .Lfunc_end0-bluestein_single_back_len200_dim1_sp_op_CI_CI
                                        ; -- End function
	.section	.AMDGPU.csdata,"",@progbits
; Kernel info:
; codeLenInByte = 7452
; NumSgprs: 22
; NumVgprs: 104
; ScratchSize: 0
; MemoryBound: 0
; FloatMode: 240
; IeeeMode: 1
; LDSByteSize: 4800 bytes/workgroup (compile time only)
; SGPRBlocks: 2
; VGPRBlocks: 12
; NumSGPRsForWavesPerEU: 22
; NumVGPRsForWavesPerEU: 104
; Occupancy: 9
; WaveLimiterHint : 1
; COMPUTE_PGM_RSRC2:SCRATCH_EN: 0
; COMPUTE_PGM_RSRC2:USER_SGPR: 6
; COMPUTE_PGM_RSRC2:TRAP_HANDLER: 0
; COMPUTE_PGM_RSRC2:TGID_X_EN: 1
; COMPUTE_PGM_RSRC2:TGID_Y_EN: 0
; COMPUTE_PGM_RSRC2:TGID_Z_EN: 0
; COMPUTE_PGM_RSRC2:TIDIG_COMP_CNT: 0
	.text
	.p2alignl 6, 3214868480
	.fill 48, 4, 3214868480
	.type	__hip_cuid_20dd08dfd46e220d,@object ; @__hip_cuid_20dd08dfd46e220d
	.section	.bss,"aw",@nobits
	.globl	__hip_cuid_20dd08dfd46e220d
__hip_cuid_20dd08dfd46e220d:
	.byte	0                               ; 0x0
	.size	__hip_cuid_20dd08dfd46e220d, 1

	.ident	"AMD clang version 19.0.0git (https://github.com/RadeonOpenCompute/llvm-project roc-6.4.0 25133 c7fe45cf4b819c5991fe208aaa96edf142730f1d)"
	.section	".note.GNU-stack","",@progbits
	.addrsig
	.addrsig_sym __hip_cuid_20dd08dfd46e220d
	.amdgpu_metadata
---
amdhsa.kernels:
  - .args:
      - .actual_access:  read_only
        .address_space:  global
        .offset:         0
        .size:           8
        .value_kind:     global_buffer
      - .actual_access:  read_only
        .address_space:  global
        .offset:         8
        .size:           8
        .value_kind:     global_buffer
      - .actual_access:  read_only
        .address_space:  global
        .offset:         16
        .size:           8
        .value_kind:     global_buffer
      - .actual_access:  read_only
        .address_space:  global
        .offset:         24
        .size:           8
        .value_kind:     global_buffer
      - .actual_access:  read_only
        .address_space:  global
        .offset:         32
        .size:           8
        .value_kind:     global_buffer
      - .offset:         40
        .size:           8
        .value_kind:     by_value
      - .address_space:  global
        .offset:         48
        .size:           8
        .value_kind:     global_buffer
      - .address_space:  global
        .offset:         56
        .size:           8
        .value_kind:     global_buffer
      - .address_space:  global
        .offset:         64
        .size:           8
        .value_kind:     global_buffer
      - .address_space:  global
        .offset:         72
        .size:           8
        .value_kind:     global_buffer
      - .offset:         80
        .size:           4
        .value_kind:     by_value
      - .address_space:  global
        .offset:         88
        .size:           8
        .value_kind:     global_buffer
      - .address_space:  global
        .offset:         96
        .size:           8
        .value_kind:     global_buffer
    .group_segment_fixed_size: 4800
    .kernarg_segment_align: 8
    .kernarg_segment_size: 104
    .language:       OpenCL C
    .language_version:
      - 2
      - 0
    .max_flat_workgroup_size: 60
    .name:           bluestein_single_back_len200_dim1_sp_op_CI_CI
    .private_segment_fixed_size: 0
    .sgpr_count:     22
    .sgpr_spill_count: 0
    .symbol:         bluestein_single_back_len200_dim1_sp_op_CI_CI.kd
    .uniform_work_group_size: 1
    .uses_dynamic_stack: false
    .vgpr_count:     104
    .vgpr_spill_count: 0
    .wavefront_size: 32
    .workgroup_processor_mode: 1
amdhsa.target:   amdgcn-amd-amdhsa--gfx1030
amdhsa.version:
  - 1
  - 2
...

	.end_amdgpu_metadata
